;; amdgpu-corpus repo=zjin-lcf/HeCBench kind=compiled arch=gfx1250 opt=O3
	.amdgcn_target "amdgcn-amd-amdhsa--gfx1250"
	.amdhsa_code_object_version 6
	.text
	.protected	_Z16cast1_intrinsicsiPKdPx ; -- Begin function _Z16cast1_intrinsicsiPKdPx
	.globl	_Z16cast1_intrinsicsiPKdPx
	.p2align	8
	.type	_Z16cast1_intrinsicsiPKdPx,@function
_Z16cast1_intrinsicsiPKdPx:             ; @_Z16cast1_intrinsicsiPKdPx
; %bb.0:
	s_clause 0x1
	s_load_b32 s2, s[0:1], 0x24
	s_load_b32 s3, s[0:1], 0x0
	s_bfe_u32 s4, ttmp6, 0x4000c
	s_and_b32 s5, ttmp6, 15
	s_add_co_i32 s4, s4, 1
	s_getreg_b32 s6, hwreg(HW_REG_IB_STS2, 6, 4)
	s_mul_i32 s4, ttmp9, s4
	s_delay_alu instid0(SALU_CYCLE_1) | instskip(SKIP_4) | instid1(SALU_CYCLE_1)
	s_add_co_i32 s5, s5, s4
	s_wait_kmcnt 0x0
	s_and_b32 s2, s2, 0xffff
	s_cmp_eq_u32 s6, 0
	s_cselect_b32 s4, ttmp9, s5
	v_mad_u32 v24, s4, s2, v0
	s_mov_b32 s2, exec_lo
	s_delay_alu instid0(VALU_DEP_1)
	v_cmpx_gt_i32_e64 s3, v24
	s_cbranch_execz .LBB0_2
; %bb.1:
	s_load_b128 s[4:7], s[0:1], 0x8
	s_wait_kmcnt 0x0
	global_load_b64 v[0:1], v24, s[4:5] scale_offset
	s_wait_loadcnt 0x0
	v_rndne_f64_e32 v[2:3], v[0:1]
	v_trunc_f64_e32 v[8:9], v[0:1]
	v_floor_f64_e32 v[6:7], v[0:1]
	v_ceil_f64_e32 v[4:5], v[0:1]
	v_cvt_f32_f64_e32 v25, v[0:1]
	v_cvt_i32_f64_e32 v29, v[0:1]
	v_cvt_u32_f64_e32 v30, v[0:1]
	v_ldexp_f64 v[10:11], v[2:3], 0xffffffe0
	v_ldexp_f64 v[12:13], v[8:9], 0xffffffe0
	v_ldexp_f64 v[14:15], v[6:7], 0xffffffe0
	v_ldexp_f64 v[16:17], v[4:5], 0xffffffe0
	v_cvt_i32_f64_e32 v32, v[2:3]
	v_cvt_u32_f64_e32 v39, v[2:3]
	v_cvt_i32_f64_e32 v31, v[6:7]
	v_cvt_u32_f64_e32 v38, v[6:7]
	;; [unrolled: 2-line block ×3, first 2 shown]
	v_floor_f32_e32 v34, v25
	v_rndne_f32_e32 v35, v25
	v_ceil_f32_e32 v36, v25
	v_trunc_f32_e32 v37, v25
	v_xor_b32_e32 v28, v1, v0
	v_mul_f32_e32 v49, 0x2f800000, v34
	v_mul_f32_e64 v21, 0x2f800000, |v35|
	v_mul_f32_e64 v23, 0x2f800000, |v36|
	;; [unrolled: 1-line block ×3, first 2 shown]
	v_dual_ashrrev_i32 v20, 31, v35 :: v_dual_ashrrev_i32 v22, 31, v36
	s_delay_alu instid0(VALU_DEP_4) | instskip(NEXT) | instid1(VALU_DEP_4)
	v_floor_f32_e32 v54, v21
	v_floor_f32_e32 v55, v23
	s_delay_alu instid0(VALU_DEP_4)
	v_floor_f32_e32 v56, v27
	v_ashrrev_i32_e32 v26, 31, v37
	v_cvt_i32_f32_e32 v45, v37
	v_fma_f32 v58, 0xcf800000, v54, |v35|
	v_floor_f32_e32 v49, v49
	v_cvt_i32_f32_e32 v42, v34
	v_mov_b32_e32 v27, v26
	v_cvt_u32_f32_e32 v46, v34
	v_cvt_u32_f32_e32 v54, v54
	v_floor_f64_e32 v[18:19], v[10:11]
	v_floor_f64_e32 v[12:13], v[12:13]
	;; [unrolled: 1-line block ×4, first 2 shown]
	v_mul_f32_e64 v17, 0x2f800000, |v34|
	v_ashrrev_i32_e32 v16, 31, v34
	v_mul_f32_e32 v52, 0x2f800000, v37
	v_dual_mul_f32 v50, 0x2f800000, v35 :: v_dual_mul_f32 v51, 0x2f800000, v36
	s_delay_alu instid0(VALU_DEP_4) | instskip(NEXT) | instid1(VALU_DEP_4)
	v_floor_f32_e32 v53, v17
	v_mov_b32_e32 v17, v16
	s_delay_alu instid0(VALU_DEP_4) | instskip(SKIP_1) | instid1(VALU_DEP_4)
	v_floor_f32_e32 v52, v52
	v_dual_mov_b32 v21, v20 :: v_dual_mov_b32 v23, v22
	v_fma_f32 v57, 0xcf800000, v53, |v34|
	v_cvt_u32_f32_e32 v53, v53
	v_fmac_f32_e32 v34, 0xcf800000, v49
	v_floor_f32_e32 v50, v50
	v_cvt_i32_f32_e32 v43, v35
	v_cvt_u32_f32_e32 v47, v35
	v_floor_f32_e32 v51, v51
	v_cvt_u32_f32_e32 v49, v49
	v_fmac_f32_e32 v35, 0xcf800000, v50
	v_cvt_u32_f32_e32 v34, v34
	v_cvt_u32_f32_e32 v41, v25
	v_cvt_i32_f32_e32 v44, v36
	v_cvt_u32_f32_e32 v48, v36
	v_cvt_u32_f32_e32 v50, v50
	v_fmac_f64_e32 v[2:3], 0xc1f00000, v[18:19]
	v_fmac_f64_e32 v[8:9], 0xc1f00000, v[12:13]
	;; [unrolled: 1-line block ×4, first 2 shown]
	v_cvt_i32_f64_e32 v59, v[18:19]
	v_cvt_i32_f64_e32 v62, v[12:13]
	v_cvt_u32_f64_e32 v18, v[18:19]
	v_cvt_u32_f64_e32 v12, v[12:13]
	v_cvt_i32_f64_e32 v13, v[14:15]
	v_cvt_u32_f64_e32 v14, v[14:15]
	v_cvt_i32_f64_e32 v15, v[10:11]
	v_cvt_u32_f64_e32 v10, v[10:11]
	v_fma_f32 v19, 0xcf800000, v55, |v36|
	v_cvt_u32_f32_e32 v11, v52
	v_cvt_u32_f32_e32 v55, v55
	v_fmac_f32_e32 v36, 0xcf800000, v51
	v_cvt_u32_f32_e32 v35, v35
	v_cvt_u32_f32_e32 v51, v51
	s_delay_alu instid0(VALU_DEP_3)
	v_cvt_u32_f32_e32 v36, v36
	v_cvt_u32_f64_e32 v60, v[2:3]
	v_cvt_u32_f64_e32 v61, v[8:9]
	;; [unrolled: 1-line block ×4, first 2 shown]
	v_fma_f32 v2, 0xcf800000, v56, |v37|
	v_cvt_u32_f32_e32 v4, v57
	v_cvt_u32_f32_e32 v6, v58
	;; [unrolled: 1-line block ×5, first 2 shown]
	v_fmac_f32_e32 v37, 0xcf800000, v52
	v_xor_b32_e32 v3, v53, v16
	v_xor_b32_e32 v2, v4, v16
	;; [unrolled: 1-line block ×7, first 2 shown]
	v_sub_nc_u64_e32 v[2:3], v[2:3], v[16:17]
	v_xor_b32_e32 v12, v18, v12
	v_xor_b32_e32 v5, v54, v20
	;; [unrolled: 1-line block ×3, first 2 shown]
	v_sub_nc_u64_e32 v[8:9], v[8:9], v[26:27]
	v_cvt_u32_f32_e32 v37, v37
	v_xor_b32_e32 v12, v12, v14
	v_xor_b32_e32 v7, v55, v22
	;; [unrolled: 1-line block ×3, first 2 shown]
	v_sub_nc_u64_e32 v[4:5], v[4:5], v[20:21]
	v_xor3_b32 v15, v31, v29, v32
	v_xor_b32_e32 v10, v12, v10
	v_sub_nc_u64_e32 v[6:7], v[6:7], v[22:23]
	v_xor_b32_e32 v9, v13, v9
	v_xor_b32_e32 v52, v61, v60
	s_delay_alu instid0(VALU_DEP_4) | instskip(SKIP_1) | instid1(VALU_DEP_4)
	v_xor_b32_e32 v10, v10, v11
	v_xor3_b32 v12, v15, v33, v42
	v_xor_b32_e32 v3, v9, v3
	s_delay_alu instid0(VALU_DEP_4) | instskip(NEXT) | instid1(VALU_DEP_4)
	v_xor_b32_e32 v16, v52, v63
	v_xor_b32_e32 v10, v10, v49
	s_delay_alu instid0(VALU_DEP_4) | instskip(NEXT) | instid1(VALU_DEP_4)
	v_xor3_b32 v9, v12, v43, v44
	v_xor_b32_e32 v3, v3, v5
	s_delay_alu instid0(VALU_DEP_4) | instskip(SKIP_1) | instid1(VALU_DEP_3)
	v_xor_b32_e32 v14, v16, v64
	v_xor3_b32 v16, v39, v30, v38
	v_xor_b32_e32 v7, v3, v7
	s_delay_alu instid0(VALU_DEP_3) | instskip(NEXT) | instid1(VALU_DEP_3)
	v_xor_b32_e32 v8, v14, v8
	v_xor3_b32 v13, v16, v40, v41
	s_delay_alu instid0(VALU_DEP_3) | instskip(NEXT) | instid1(VALU_DEP_3)
	v_xor_b32_e32 v1, v7, v1
	v_xor_b32_e32 v2, v8, v2
	;; [unrolled: 1-line block ×3, first 2 shown]
	s_delay_alu instid0(VALU_DEP_4) | instskip(NEXT) | instid1(VALU_DEP_3)
	v_xor3_b32 v5, v13, v46, v47
	v_xor_b32_e32 v2, v2, v4
	s_delay_alu instid0(VALU_DEP_3) | instskip(SKIP_1) | instid1(VALU_DEP_3)
	v_xor_b32_e32 v4, v8, v34
	v_xor_b32_e32 v8, v10, v50
	;; [unrolled: 1-line block ×3, first 2 shown]
	s_delay_alu instid0(VALU_DEP_3) | instskip(NEXT) | instid1(VALU_DEP_3)
	v_xor_b32_e32 v4, v4, v35
	v_xor_b32_e32 v3, v8, v51
	v_xor3_b32 v6, v9, v45, v28
	s_delay_alu instid0(VALU_DEP_4) | instskip(NEXT) | instid1(VALU_DEP_4)
	v_xor_b32_e32 v0, v2, v0
	v_xor_b32_e32 v2, v4, v36
	v_xor3_b32 v4, v5, v48, v25
	s_delay_alu instid0(VALU_DEP_2) | instskip(NEXT) | instid1(VALU_DEP_2)
	v_add_nc_u64_e32 v[0:1], v[0:1], v[2:3]
	v_xad_u32 v2, v6, v25, v4
	v_mov_b32_e32 v3, 0
	s_delay_alu instid0(VALU_DEP_1)
	v_add_nc_u64_e32 v[0:1], v[0:1], v[2:3]
	global_store_b64 v24, v[0:1], s[6:7] scale_offset
.LBB0_2:
	s_sendmsg sendmsg(MSG_DEALLOC_VGPRS)
	s_endpgm
	.section	.rodata,"a",@progbits
	.p2align	6, 0x0
	.amdhsa_kernel _Z16cast1_intrinsicsiPKdPx
		.amdhsa_group_segment_fixed_size 0
		.amdhsa_private_segment_fixed_size 0
		.amdhsa_kernarg_size 280
		.amdhsa_user_sgpr_count 2
		.amdhsa_user_sgpr_dispatch_ptr 0
		.amdhsa_user_sgpr_queue_ptr 0
		.amdhsa_user_sgpr_kernarg_segment_ptr 1
		.amdhsa_user_sgpr_dispatch_id 0
		.amdhsa_user_sgpr_kernarg_preload_length 0
		.amdhsa_user_sgpr_kernarg_preload_offset 0
		.amdhsa_user_sgpr_private_segment_size 0
		.amdhsa_wavefront_size32 1
		.amdhsa_uses_dynamic_stack 0
		.amdhsa_enable_private_segment 0
		.amdhsa_system_sgpr_workgroup_id_x 1
		.amdhsa_system_sgpr_workgroup_id_y 0
		.amdhsa_system_sgpr_workgroup_id_z 0
		.amdhsa_system_sgpr_workgroup_info 0
		.amdhsa_system_vgpr_workitem_id 0
		.amdhsa_next_free_vgpr 65
		.amdhsa_next_free_sgpr 8
		.amdhsa_named_barrier_count 0
		.amdhsa_reserve_vcc 0
		.amdhsa_float_round_mode_32 0
		.amdhsa_float_round_mode_16_64 0
		.amdhsa_float_denorm_mode_32 3
		.amdhsa_float_denorm_mode_16_64 3
		.amdhsa_fp16_overflow 0
		.amdhsa_memory_ordered 1
		.amdhsa_forward_progress 1
		.amdhsa_inst_pref_size 8
		.amdhsa_round_robin_scheduling 0
		.amdhsa_exception_fp_ieee_invalid_op 0
		.amdhsa_exception_fp_denorm_src 0
		.amdhsa_exception_fp_ieee_div_zero 0
		.amdhsa_exception_fp_ieee_overflow 0
		.amdhsa_exception_fp_ieee_underflow 0
		.amdhsa_exception_fp_ieee_inexact 0
		.amdhsa_exception_int_div_zero 0
	.end_amdhsa_kernel
	.text
.Lfunc_end0:
	.size	_Z16cast1_intrinsicsiPKdPx, .Lfunc_end0-_Z16cast1_intrinsicsiPKdPx
                                        ; -- End function
	.set _Z16cast1_intrinsicsiPKdPx.num_vgpr, 65
	.set _Z16cast1_intrinsicsiPKdPx.num_agpr, 0
	.set _Z16cast1_intrinsicsiPKdPx.numbered_sgpr, 8
	.set _Z16cast1_intrinsicsiPKdPx.num_named_barrier, 0
	.set _Z16cast1_intrinsicsiPKdPx.private_seg_size, 0
	.set _Z16cast1_intrinsicsiPKdPx.uses_vcc, 0
	.set _Z16cast1_intrinsicsiPKdPx.uses_flat_scratch, 0
	.set _Z16cast1_intrinsicsiPKdPx.has_dyn_sized_stack, 0
	.set _Z16cast1_intrinsicsiPKdPx.has_recursion, 0
	.set _Z16cast1_intrinsicsiPKdPx.has_indirect_call, 0
	.section	.AMDGPU.csdata,"",@progbits
; Kernel info:
; codeLenInByte = 996
; TotalNumSgprs: 8
; NumVgprs: 65
; ScratchSize: 0
; MemoryBound: 0
; FloatMode: 240
; IeeeMode: 1
; LDSByteSize: 0 bytes/workgroup (compile time only)
; SGPRBlocks: 0
; VGPRBlocks: 4
; NumSGPRsForWavesPerEU: 8
; NumVGPRsForWavesPerEU: 65
; NamedBarCnt: 0
; Occupancy: 12
; WaveLimiterHint : 0
; COMPUTE_PGM_RSRC2:SCRATCH_EN: 0
; COMPUTE_PGM_RSRC2:USER_SGPR: 2
; COMPUTE_PGM_RSRC2:TRAP_HANDLER: 0
; COMPUTE_PGM_RSRC2:TGID_X_EN: 1
; COMPUTE_PGM_RSRC2:TGID_Y_EN: 0
; COMPUTE_PGM_RSRC2:TGID_Z_EN: 0
; COMPUTE_PGM_RSRC2:TIDIG_COMP_CNT: 0
	.text
	.protected	_Z16cast2_intrinsicsiPKxPx ; -- Begin function _Z16cast2_intrinsicsiPKxPx
	.globl	_Z16cast2_intrinsicsiPKxPx
	.p2align	8
	.type	_Z16cast2_intrinsicsiPKxPx,@function
_Z16cast2_intrinsicsiPKxPx:             ; @_Z16cast2_intrinsicsiPKxPx
; %bb.0:
	s_clause 0x1
	s_load_b32 s2, s[0:1], 0x24
	s_load_b32 s3, s[0:1], 0x0
	s_bfe_u32 s4, ttmp6, 0x4000c
	s_and_b32 s5, ttmp6, 15
	s_add_co_i32 s4, s4, 1
	s_getreg_b32 s6, hwreg(HW_REG_IB_STS2, 6, 4)
	s_mul_i32 s4, ttmp9, s4
	s_delay_alu instid0(SALU_CYCLE_1) | instskip(SKIP_4) | instid1(SALU_CYCLE_1)
	s_add_co_i32 s5, s5, s4
	s_wait_kmcnt 0x0
	s_and_b32 s2, s2, 0xffff
	s_cmp_eq_u32 s6, 0
	s_cselect_b32 s4, ttmp9, s5
	v_mad_u32 v4, s4, s2, v0
	s_mov_b32 s2, 0
	s_delay_alu instid0(VALU_DEP_1)
	v_cmp_gt_i32_e32 vcc_lo, s3, v4
	s_and_saveexec_b32 s3, vcc_lo
	s_cbranch_execz .LBB1_2
; %bb.1:
	s_load_b128 s[4:7], s[0:1], 0x8
	v_mov_b32_e32 v13, 0
	s_delay_alu instid0(VALU_DEP_1)
	v_mov_b32_e32 v17, v13
	s_wait_kmcnt 0x0
	global_load_b64 v[0:1], v4, s[4:5] scale_offset
	s_wait_loadcnt 0x0
	v_sub_nc_u64_e32 v[2:3], 0, v[0:1]
	v_cvt_f64_i32_e32 v[6:7], v0
	v_cvt_f64_u32_e32 v[8:9], v0
	v_cvt_f64_i32_e32 v[10:11], v1
	v_cmp_eq_u64_e32 vcc_lo, 0, v[0:1]
	v_clz_i32_u32_e32 v24, v1
	v_and_b32_e32 v28, 0x80000000, v0
	v_max_i64 v[2:3], v[0:1], v[2:3]
	v_cls_i32_e32 v30, v1
	v_cvt_f32_u32_e32 v29, v0
	v_add_f64_e32 v[6:7], v[6:7], v[8:9]
	v_ldexp_f64 v[10:11], v[10:11], 32
	v_clz_i32_u32_e32 v5, v3
	v_clz_i32_u32_e32 v12, v2
	s_delay_alu instid0(VALU_DEP_1) | instskip(NEXT) | instid1(VALU_DEP_1)
	v_add_min_u32_e64 v5, v12, 32, v5
	v_cndmask_b32_e64 v5, v5, 64, vcc_lo
	s_delay_alu instid0(VALU_DEP_1) | instskip(SKIP_1) | instid1(VALU_DEP_1)
	v_lshlrev_b64_e32 v[2:3], v5, v[2:3]
	v_sub_nc_u32_e32 v16, 0x43e, v5
	v_dual_ashrrev_i32 v22, 31, v1 :: v_dual_lshlrev_b32 v18, 20, v16
	s_delay_alu instid0(VALU_DEP_3) | instskip(NEXT) | instid1(VALU_DEP_4)
	v_and_b32_e32 v12, 0x7ff, v2
	v_lshrrev_b64 v[14:15], 11, v[2:3]
	s_delay_alu instid0(VALU_DEP_3) | instskip(NEXT) | instid1(VALU_DEP_4)
	v_and_b32_e32 v23, 0x80000000, v22
	v_cndmask_b32_e64 v19, v18, 0, vcc_lo
	s_delay_alu instid0(VALU_DEP_4) | instskip(SKIP_3) | instid1(VALU_DEP_4)
	v_dual_add_f64 v[10:11], v[10:11], v[8:9] :: v_dual_bitop2_b32 v16, v12, v22 bitop3:0x40
	v_cmp_ne_u64_e64 s1, 0, v[12:13]
	v_and_b32_e32 v20, 0xfffff, v15
	v_mov_b32_e32 v15, s2
	v_cmp_ne_u64_e64 s0, 0, v[16:17]
	v_or3_b32 v18, 0, 0, v14
	v_clz_i32_u32_e32 v12, v0
	v_or3_b32 v19, v19, v23, v20
	s_delay_alu instid0(VALU_DEP_2) | instskip(SKIP_3) | instid1(VALU_DEP_4)
	v_add_nc_u32_e64 v16, v12, 32 clamp
	v_cndmask_b32_e64 v14, 0, 1, s0
	v_cmp_lt_i64_e64 s0, -1, v[0:1]
	v_min_u32_e32 v12, 32, v12
	v_min3_u32 v25, v16, v24, 64
	s_delay_alu instid0(VALU_DEP_4) | instskip(SKIP_1) | instid1(VALU_DEP_4)
	v_add_nc_u64_e32 v[14:15], v[18:19], v[14:15]
	v_min_u32_e32 v24, 32, v24
	v_lshlrev_b32_e32 v33, v12, v0
	s_and_b32 s1, s0, s1
	s_delay_alu instid0(VALU_DEP_3) | instskip(SKIP_1) | instid1(VALU_DEP_2)
	v_dual_add_f64 v[6:7], v[6:7], v[14:15] :: v_dual_lshlrev_b32 v12, 23, v12
	v_cvt_f64_u32_e32 v[14:15], v1
	v_sub_nc_u32_e32 v12, 0x4f000000, v12
	s_delay_alu instid0(VALU_DEP_3) | instskip(SKIP_2) | instid1(VALU_DEP_2)
	v_dual_add_f64 v[6:7], v[6:7], v[10:11] :: v_dual_mov_b32 v11, s2
	v_cndmask_b32_e64 v10, 0, 1, s1
	v_cmp_gt_i32_e64 s1, 0, v0
	v_add_nc_u64_e32 v[10:11], v[18:19], v[10:11]
	s_delay_alu instid0(VALU_DEP_1) | instskip(SKIP_2) | instid1(VALU_DEP_1)
	v_add_f64_e32 v[6:7], v[6:7], v[10:11]
	v_ldexp_f64 v[10:11], v[14:15], 32
	v_lshlrev_b64_e32 v[14:15], v25, v[0:1]
	v_lshrrev_b64 v[20:21], 11, v[14:15]
	s_delay_alu instid0(VALU_DEP_1)
	v_and_b32_e32 v21, 0xfffff, v21
	v_dual_add_f64 v[6:7], v[6:7], v[18:19] :: v_dual_mov_b32 v18, v13
	v_lshlrev_b32_e32 v19, 20, v25
	v_add_f64_e32 v[8:9], v[10:11], v[8:9]
	v_min_u32_e32 v10, 0xffffff7f, v0
	v_xor_b32_e32 v11, v0, v1
	s_delay_alu instid0(VALU_DEP_4) | instskip(NEXT) | instid1(VALU_DEP_1)
	v_sub_nc_u64_e32 v[18:19], 0x43e0000000000000, v[18:19]
	v_cndmask_b32_e64 v26, v19, 0, vcc_lo
	v_add_f64_e32 v[16:17], 0, v[0:1]
	s_delay_alu instid0(VALU_DEP_3) | instskip(NEXT) | instid1(VALU_DEP_3)
	v_cndmask_b32_e64 v18, v18, 0, vcc_lo
	v_dual_mov_b32 v19, s2 :: v_dual_bitop2_b32 v21, v21, v26 bitop3:0x54
	s_delay_alu instid0(VALU_DEP_2) | instskip(SKIP_2) | instid1(VALU_DEP_3)
	v_dual_sub_nc_u32 v26, 0, v0 :: v_dual_bitop2_b32 v20, v20, v18 bitop3:0x54
	v_cvt_f32_i32_e32 v18, v0
	v_min_i32_e32 v27, 0x7fffffbf, v0
	v_max_i32_e32 v26, v0, v26
	s_delay_alu instid0(VALU_DEP_2) | instskip(NEXT) | instid1(VALU_DEP_2)
	v_cvt_f32_i32_e32 v27, v27
	v_clz_i32_u32_e32 v32, v26
	v_add_f64_e32 v[6:7], v[6:7], v[20:21]
	s_delay_alu instid0(VALU_DEP_3) | instskip(SKIP_4) | instid1(VALU_DEP_3)
	v_cvt_i32_f32_e32 v31, v27
	v_cvt_f32_f64_e32 v16, v[16:17]
	v_cvt_f32_u32_e32 v17, v10
	v_ashrrev_i32_e32 v10, 31, v11
	v_sub_nc_u32_e32 v11, 0x80000000, v27
	v_cvt_u32_f32_e32 v34, v17
	s_delay_alu instid0(VALU_DEP_2) | instskip(SKIP_2) | instid1(VALU_DEP_3)
	v_cndmask_b32_e64 v11, v27, v11, s1
	v_cmp_eq_u32_e64 s1, 0, v0
	v_add_nc_u32_e32 v10, 32, v10
	v_sub_nc_u32_e32 v36, 0x80000001, v11
	s_delay_alu instid0(VALU_DEP_3) | instskip(SKIP_3) | instid1(VALU_DEP_4)
	v_cndmask_b32_e64 v32, v32, 32, s1
	v_add_nc_u32_e32 v35, -1, v11
	v_add_co_u32 v37, s3, v11, 1
	v_xor_b32_e32 v38, 0x7fffffff, v11
	v_lshlrev_b32_e32 v39, 23, v32
	s_delay_alu instid0(VALU_DEP_4) | instskip(SKIP_1) | instid1(VALU_DEP_3)
	v_cmp_gt_i32_e64 s2, 0, v35
	v_dual_add_f64 v[6:7], v[6:7], v[8:9] :: v_dual_lshlrev_b32 v9, v32, v26
	v_sub_nc_u32_e32 v26, 0x4f000000, v39
	s_delay_alu instid0(VALU_DEP_3) | instskip(SKIP_1) | instid1(VALU_DEP_4)
	v_cndmask_b32_e64 v35, v35, v36, s2
	v_cmp_gt_i32_e64 s2, -1, v11
	v_bfe_u32 v9, v9, 8, 23
	s_delay_alu instid0(VALU_DEP_2) | instskip(SKIP_1) | instid1(VALU_DEP_2)
	v_cndmask_b32_e64 v11, v37, v38, s2
	v_cmp_lt_i32_e64 s2, v0, v31
	v_cndmask_b32_e64 v11, v11, 0x80000000, s3
	s_delay_alu instid0(VALU_DEP_2) | instskip(SKIP_1) | instid1(VALU_DEP_2)
	v_cndmask_b32_e64 v8, v27, v35, s2
	v_cmp_gt_i32_e64 s2, v0, v31
	v_add_f32_e32 v8, v8, v16
	v_cndmask_b32_e64 v16, v26, 0, s1
	v_cndmask_b32_e64 v26, v12, 0, s1
	v_and_b32_e32 v12, 0x7ff, v14
	s_delay_alu instid0(VALU_DEP_4) | instskip(NEXT) | instid1(VALU_DEP_4)
	v_add_f32_e32 v8, v8, v18
	v_or3_b32 v9, v16, v28, v9
	v_cndmask_b32_e64 v11, v27, v11, s2
	s_delay_alu instid0(VALU_DEP_4) | instskip(SKIP_2) | instid1(VALU_DEP_4)
	v_cmp_ne_u64_e64 s1, 0, v[12:13]
	v_lshrrev_b32_e32 v18, 8, v33
	v_add_min_u32_e64 v16, v30, -1, v10
	v_dual_add_f32 v8, v11, v8 :: v_dual_add_nc_u32 v13, 1, v17
	s_delay_alu instid0(VALU_DEP_3) | instskip(SKIP_2) | instid1(VALU_DEP_4)
	v_and_or_b32 v26, 0x7fffff, v18, v26
	v_cndmask_b32_e64 v18, 0, 1, s1
	v_cmp_gt_u32_e64 s1, v0, v34
	v_add_f32_e32 v12, v8, v9
	v_lshlrev_b64_e32 v[8:9], v16, v[0:1]
	v_sub_nc_u32_e32 v16, 32, v16
	v_add_nc_u64_e32 v[10:11], v[20:21], v[18:19]
	s_delay_alu instid0(VALU_DEP_4) | instskip(SKIP_2) | instid1(VALU_DEP_3)
	v_dual_cndmask_b32 v13, v17, v13, s1 :: v_dual_add_f32 v12, v12, v26
	v_lshlrev_b32_e32 v5, 23, v5
	v_min_u32_e32 v8, 1, v8
	v_dual_add_f64 v[6:7], v[6:7], v[10:11] :: v_dual_add_f32 v12, v12, v29
	s_delay_alu instid0(VALU_DEP_3) | instskip(NEXT) | instid1(VALU_DEP_3)
	v_sub_nc_u32_e32 v5, 0x5f000000, v5
	v_dual_mov_b32 v8, v2 :: v_dual_bitop2_b32 v17, v9, v8 bitop3:0x54
	s_delay_alu instid0(VALU_DEP_3)
	v_add_f32_e32 v12, v13, v12
	v_and_b32_e32 v9, 0xff, v3
	v_bfe_u32 v13, v3, 8, 23
	v_cndmask_b32_e64 v5, v5, 0, vcc_lo
	v_lshlrev_b64_e32 v[10:11], v24, v[0:1]
	v_add_f32_e32 v12, v12, v26
	v_and_b32_e32 v3, v9, v22
	v_cmp_ne_u64_e64 s1, 0, v[8:9]
	v_dual_lshlrev_b32 v8, 23, v25 :: v_dual_bitop2_b32 v2, v2, v22 bitop3:0x40
	s_delay_alu instid0(VALU_DEP_4)
	v_add_f32_e32 v12, v12, v0
	v_or3_b32 v5, v5, v23, v13
	v_lshrrev_b32_e32 v13, 8, v15
	v_cvt_f32_i32_e32 v17, v17
	v_cmp_ne_u64_e64 s2, 0, v[2:3]
	v_add_f32_e32 v3, v12, v0
	s_and_b32 s0, s0, s1
	v_min_u32_e32 v9, 1, v10
	v_ldexp_f32 v10, v17, v16
	v_add_co_ci_u32_e64 v12, null, 0, v5, s0
	v_add_co_ci_u32_e64 v2, null, 0, v5, s2
	v_and_b32_e32 v15, 0xff, v15
	s_delay_alu instid0(VALU_DEP_2) | instskip(NEXT) | instid1(VALU_DEP_1)
	v_add_f32_e32 v2, v3, v2
	v_add_f32_e32 v10, v2, v10
	v_add_f64_e32 v[2:3], v[6:7], v[20:21]
	v_dual_sub_nc_u32 v9, 32, v24 :: v_dual_bitop2_b32 v6, v11, v9 bitop3:0x54
	s_delay_alu instid0(VALU_DEP_1) | instskip(NEXT) | instid1(VALU_DEP_1)
	v_cvt_f32_u32_e32 v6, v6
	v_ldexp_f32 v6, v6, v9
	v_sub_nc_u32_e32 v8, 0x5f000000, v8
	s_delay_alu instid0(VALU_DEP_1) | instskip(SKIP_2) | instid1(VALU_DEP_3)
	v_cndmask_b32_e64 v7, v8, 0, vcc_lo
	v_add_f32_e32 v8, v10, v12
	v_cmp_ne_u64_e32 vcc_lo, 0, v[14:15]
	v_and_or_b32 v7, 0x7fffff, v13, v7
	s_delay_alu instid0(VALU_DEP_3) | instskip(NEXT) | instid1(VALU_DEP_2)
	v_add_f32_e32 v5, v8, v5
	v_add_co_ci_u32_e64 v8, null, 0, v7, vcc_lo
	s_delay_alu instid0(VALU_DEP_2) | instskip(NEXT) | instid1(VALU_DEP_1)
	v_add_f32_e32 v5, v5, v7
	v_add_f32_e32 v5, v5, v6
	s_delay_alu instid0(VALU_DEP_1) | instskip(NEXT) | instid1(VALU_DEP_1)
	v_add_f32_e32 v5, v5, v8
	v_dual_add_f64 v[0:1], v[2:3], v[0:1] :: v_dual_add_f32 v5, v5, v7
	s_delay_alu instid0(VALU_DEP_1) | instskip(NEXT) | instid1(VALU_DEP_1)
	v_cvt_f64_f32_e32 v[2:3], v5
	v_add_f64_e32 v[0:1], v[0:1], v[2:3]
	global_store_b64 v4, v[0:1], s[6:7] scale_offset
.LBB1_2:
	s_endpgm
	.section	.rodata,"a",@progbits
	.p2align	6, 0x0
	.amdhsa_kernel _Z16cast2_intrinsicsiPKxPx
		.amdhsa_group_segment_fixed_size 0
		.amdhsa_private_segment_fixed_size 0
		.amdhsa_kernarg_size 280
		.amdhsa_user_sgpr_count 2
		.amdhsa_user_sgpr_dispatch_ptr 0
		.amdhsa_user_sgpr_queue_ptr 0
		.amdhsa_user_sgpr_kernarg_segment_ptr 1
		.amdhsa_user_sgpr_dispatch_id 0
		.amdhsa_user_sgpr_kernarg_preload_length 0
		.amdhsa_user_sgpr_kernarg_preload_offset 0
		.amdhsa_user_sgpr_private_segment_size 0
		.amdhsa_wavefront_size32 1
		.amdhsa_uses_dynamic_stack 0
		.amdhsa_enable_private_segment 0
		.amdhsa_system_sgpr_workgroup_id_x 1
		.amdhsa_system_sgpr_workgroup_id_y 0
		.amdhsa_system_sgpr_workgroup_id_z 0
		.amdhsa_system_sgpr_workgroup_info 0
		.amdhsa_system_vgpr_workitem_id 0
		.amdhsa_next_free_vgpr 40
		.amdhsa_next_free_sgpr 8
		.amdhsa_named_barrier_count 0
		.amdhsa_reserve_vcc 1
		.amdhsa_float_round_mode_32 0
		.amdhsa_float_round_mode_16_64 0
		.amdhsa_float_denorm_mode_32 3
		.amdhsa_float_denorm_mode_16_64 3
		.amdhsa_fp16_overflow 0
		.amdhsa_memory_ordered 1
		.amdhsa_forward_progress 1
		.amdhsa_inst_pref_size 11
		.amdhsa_round_robin_scheduling 0
		.amdhsa_exception_fp_ieee_invalid_op 0
		.amdhsa_exception_fp_denorm_src 0
		.amdhsa_exception_fp_ieee_div_zero 0
		.amdhsa_exception_fp_ieee_overflow 0
		.amdhsa_exception_fp_ieee_underflow 0
		.amdhsa_exception_fp_ieee_inexact 0
		.amdhsa_exception_int_div_zero 0
	.end_amdhsa_kernel
	.text
.Lfunc_end1:
	.size	_Z16cast2_intrinsicsiPKxPx, .Lfunc_end1-_Z16cast2_intrinsicsiPKxPx
                                        ; -- End function
	.set _Z16cast2_intrinsicsiPKxPx.num_vgpr, 40
	.set _Z16cast2_intrinsicsiPKxPx.num_agpr, 0
	.set _Z16cast2_intrinsicsiPKxPx.numbered_sgpr, 8
	.set _Z16cast2_intrinsicsiPKxPx.num_named_barrier, 0
	.set _Z16cast2_intrinsicsiPKxPx.private_seg_size, 0
	.set _Z16cast2_intrinsicsiPKxPx.uses_vcc, 1
	.set _Z16cast2_intrinsicsiPKxPx.uses_flat_scratch, 0
	.set _Z16cast2_intrinsicsiPKxPx.has_dyn_sized_stack, 0
	.set _Z16cast2_intrinsicsiPKxPx.has_recursion, 0
	.set _Z16cast2_intrinsicsiPKxPx.has_indirect_call, 0
	.section	.AMDGPU.csdata,"",@progbits
; Kernel info:
; codeLenInByte = 1360
; TotalNumSgprs: 10
; NumVgprs: 40
; ScratchSize: 0
; MemoryBound: 0
; FloatMode: 240
; IeeeMode: 1
; LDSByteSize: 0 bytes/workgroup (compile time only)
; SGPRBlocks: 0
; VGPRBlocks: 2
; NumSGPRsForWavesPerEU: 10
; NumVGPRsForWavesPerEU: 40
; NamedBarCnt: 0
; Occupancy: 16
; WaveLimiterHint : 0
; COMPUTE_PGM_RSRC2:SCRATCH_EN: 0
; COMPUTE_PGM_RSRC2:USER_SGPR: 2
; COMPUTE_PGM_RSRC2:TRAP_HANDLER: 0
; COMPUTE_PGM_RSRC2:TGID_X_EN: 1
; COMPUTE_PGM_RSRC2:TGID_Y_EN: 0
; COMPUTE_PGM_RSRC2:TGID_Z_EN: 0
; COMPUTE_PGM_RSRC2:TIDIG_COMP_CNT: 0
	.text
	.p2alignl 7, 3214868480
	.fill 96, 4, 3214868480
	.section	.AMDGPU.gpr_maximums,"",@progbits
	.set amdgpu.max_num_vgpr, 0
	.set amdgpu.max_num_agpr, 0
	.set amdgpu.max_num_sgpr, 0
	.text
	.type	__hip_cuid_8554319e43a4e3d0,@object ; @__hip_cuid_8554319e43a4e3d0
	.section	.bss,"aw",@nobits
	.globl	__hip_cuid_8554319e43a4e3d0
__hip_cuid_8554319e43a4e3d0:
	.byte	0                               ; 0x0
	.size	__hip_cuid_8554319e43a4e3d0, 1

	.ident	"AMD clang version 22.0.0git (https://github.com/RadeonOpenCompute/llvm-project roc-7.2.4 26084 f58b06dce1f9c15707c5f808fd002e18c2accf7e)"
	.section	".note.GNU-stack","",@progbits
	.addrsig
	.addrsig_sym __hip_cuid_8554319e43a4e3d0
	.amdgpu_metadata
---
amdhsa.kernels:
  - .args:
      - .offset:         0
        .size:           4
        .value_kind:     by_value
      - .address_space:  global
        .offset:         8
        .size:           8
        .value_kind:     global_buffer
      - .address_space:  global
        .offset:         16
        .size:           8
        .value_kind:     global_buffer
      - .offset:         24
        .size:           4
        .value_kind:     hidden_block_count_x
      - .offset:         28
        .size:           4
        .value_kind:     hidden_block_count_y
      - .offset:         32
        .size:           4
        .value_kind:     hidden_block_count_z
      - .offset:         36
        .size:           2
        .value_kind:     hidden_group_size_x
      - .offset:         38
        .size:           2
        .value_kind:     hidden_group_size_y
      - .offset:         40
        .size:           2
        .value_kind:     hidden_group_size_z
      - .offset:         42
        .size:           2
        .value_kind:     hidden_remainder_x
      - .offset:         44
        .size:           2
        .value_kind:     hidden_remainder_y
      - .offset:         46
        .size:           2
        .value_kind:     hidden_remainder_z
      - .offset:         64
        .size:           8
        .value_kind:     hidden_global_offset_x
      - .offset:         72
        .size:           8
        .value_kind:     hidden_global_offset_y
      - .offset:         80
        .size:           8
        .value_kind:     hidden_global_offset_z
      - .offset:         88
        .size:           2
        .value_kind:     hidden_grid_dims
    .group_segment_fixed_size: 0
    .kernarg_segment_align: 8
    .kernarg_segment_size: 280
    .language:       OpenCL C
    .language_version:
      - 2
      - 0
    .max_flat_workgroup_size: 1024
    .name:           _Z16cast1_intrinsicsiPKdPx
    .private_segment_fixed_size: 0
    .sgpr_count:     8
    .sgpr_spill_count: 0
    .symbol:         _Z16cast1_intrinsicsiPKdPx.kd
    .uniform_work_group_size: 1
    .uses_dynamic_stack: false
    .vgpr_count:     65
    .vgpr_spill_count: 0
    .wavefront_size: 32
  - .args:
      - .offset:         0
        .size:           4
        .value_kind:     by_value
      - .address_space:  global
        .offset:         8
        .size:           8
        .value_kind:     global_buffer
      - .address_space:  global
        .offset:         16
        .size:           8
        .value_kind:     global_buffer
      - .offset:         24
        .size:           4
        .value_kind:     hidden_block_count_x
      - .offset:         28
        .size:           4
        .value_kind:     hidden_block_count_y
      - .offset:         32
        .size:           4
        .value_kind:     hidden_block_count_z
      - .offset:         36
        .size:           2
        .value_kind:     hidden_group_size_x
      - .offset:         38
        .size:           2
        .value_kind:     hidden_group_size_y
      - .offset:         40
        .size:           2
        .value_kind:     hidden_group_size_z
      - .offset:         42
        .size:           2
        .value_kind:     hidden_remainder_x
      - .offset:         44
        .size:           2
        .value_kind:     hidden_remainder_y
      - .offset:         46
        .size:           2
        .value_kind:     hidden_remainder_z
      - .offset:         64
        .size:           8
        .value_kind:     hidden_global_offset_x
      - .offset:         72
        .size:           8
        .value_kind:     hidden_global_offset_y
      - .offset:         80
        .size:           8
        .value_kind:     hidden_global_offset_z
      - .offset:         88
        .size:           2
        .value_kind:     hidden_grid_dims
    .group_segment_fixed_size: 0
    .kernarg_segment_align: 8
    .kernarg_segment_size: 280
    .language:       OpenCL C
    .language_version:
      - 2
      - 0
    .max_flat_workgroup_size: 1024
    .name:           _Z16cast2_intrinsicsiPKxPx
    .private_segment_fixed_size: 0
    .sgpr_count:     10
    .sgpr_spill_count: 0
    .symbol:         _Z16cast2_intrinsicsiPKxPx.kd
    .uniform_work_group_size: 1
    .uses_dynamic_stack: false
    .vgpr_count:     40
    .vgpr_spill_count: 0
    .wavefront_size: 32
amdhsa.target:   amdgcn-amd-amdhsa--gfx1250
amdhsa.version:
  - 1
  - 2
...

	.end_amdgpu_metadata
